;; amdgpu-corpus repo=ROCm/rocFFT kind=compiled arch=gfx950 opt=O3
	.text
	.amdgcn_target "amdgcn-amd-amdhsa--gfx950"
	.amdhsa_code_object_version 6
	.protected	fft_rtc_fwd_len200_factors_8_5_5_wgs_400_tpt_40_half_op_CI_CI_sbcr_C2R_dirReg ; -- Begin function fft_rtc_fwd_len200_factors_8_5_5_wgs_400_tpt_40_half_op_CI_CI_sbcr_C2R_dirReg
	.globl	fft_rtc_fwd_len200_factors_8_5_5_wgs_400_tpt_40_half_op_CI_CI_sbcr_C2R_dirReg
	.p2align	8
	.type	fft_rtc_fwd_len200_factors_8_5_5_wgs_400_tpt_40_half_op_CI_CI_sbcr_C2R_dirReg,@function
fft_rtc_fwd_len200_factors_8_5_5_wgs_400_tpt_40_half_op_CI_CI_sbcr_C2R_dirReg: ; @fft_rtc_fwd_len200_factors_8_5_5_wgs_400_tpt_40_half_op_CI_CI_sbcr_C2R_dirReg
; %bb.0:
	s_load_dwordx4 s[4:7], s[0:1], 0x10
	s_load_dwordx2 s[36:37], s[0:1], 0x20
	s_mov_b32 s3, 0
	s_mov_b64 s[28:29], 0
	s_waitcnt lgkmcnt(0)
	s_load_dwordx2 s[24:25], s[4:5], 0x8
	s_waitcnt lgkmcnt(0)
	s_add_u32 s8, s24, -1
	s_addc_u32 s9, s25, -1
	s_add_u32 s10, 0, 0x99986000
	s_addc_u32 s11, 0, 0x59
	s_mul_hi_u32 s13, s10, -10
	s_add_i32 s11, s11, 0x19999940
	s_sub_i32 s13, s13, s10
	s_mul_i32 s16, s11, -10
	s_mul_i32 s12, s10, -10
	s_add_i32 s13, s13, s16
	s_mul_hi_u32 s14, s11, s12
	s_mul_i32 s15, s11, s12
	s_mul_i32 s17, s10, s13
	s_mul_hi_u32 s12, s10, s12
	s_mul_hi_u32 s16, s10, s13
	s_add_u32 s12, s12, s17
	s_addc_u32 s16, 0, s16
	s_add_u32 s12, s12, s15
	s_mul_hi_u32 s17, s11, s13
	s_addc_u32 s12, s16, s14
	s_addc_u32 s14, s17, 0
	s_mul_i32 s13, s11, s13
	s_add_u32 s12, s12, s13
	v_mov_b32_e32 v1, s12
	s_addc_u32 s13, 0, s14
	v_add_co_u32_e32 v1, vcc, s10, v1
	s_cmp_lg_u64 vcc, 0
	s_addc_u32 s10, s11, s13
	v_readfirstlane_b32 s13, v1
	s_mul_i32 s12, s8, s10
	s_mul_hi_u32 s14, s8, s13
	s_mul_hi_u32 s11, s8, s10
	s_add_u32 s12, s14, s12
	s_addc_u32 s11, 0, s11
	s_mul_hi_u32 s15, s9, s13
	s_mul_i32 s13, s9, s13
	s_add_u32 s12, s12, s13
	s_mul_hi_u32 s14, s9, s10
	s_addc_u32 s11, s11, s15
	s_addc_u32 s12, s14, 0
	s_mul_i32 s10, s9, s10
	s_add_u32 s10, s11, s10
	s_addc_u32 s11, 0, s12
	s_add_u32 s12, s10, 1
	s_addc_u32 s13, s11, 0
	s_add_u32 s14, s10, 2
	s_mul_i32 s16, s11, 10
	s_mul_hi_u32 s17, s10, 10
	s_addc_u32 s15, s11, 0
	s_add_i32 s17, s17, s16
	s_mul_i32 s16, s10, 10
	v_mov_b32_e32 v1, s16
	v_sub_co_u32_e32 v1, vcc, s8, v1
	s_cmp_lg_u64 vcc, 0
	s_subb_u32 s8, s9, s17
	v_subrev_co_u32_e32 v2, vcc, 10, v1
	s_cmp_lg_u64 vcc, 0
	s_subb_u32 s9, s8, 0
	v_readfirstlane_b32 s16, v2
	s_cmp_gt_u32 s16, 9
	s_cselect_b32 s16, -1, 0
	s_cmp_eq_u32 s9, 0
	s_cselect_b32 s9, s16, -1
	s_cmp_lg_u32 s9, 0
	s_cselect_b32 s9, s14, s12
	s_cselect_b32 s12, s15, s13
	v_readfirstlane_b32 s13, v1
	s_cmp_gt_u32 s13, 9
	s_cselect_b32 s13, -1, 0
	s_cmp_eq_u32 s8, 0
	s_cselect_b32 s8, s13, -1
	s_cmp_lg_u32 s8, 0
	s_cselect_b32 s9, s9, s10
	s_cselect_b32 s8, s12, s11
	s_add_u32 s26, s9, 1
	s_addc_u32 s27, s8, 0
	v_mov_b64_e32 v[2:3], s[26:27]
	v_cmp_lt_u64_e32 vcc, s[2:3], v[2:3]
	s_cbranch_vccnz .LBB0_2
; %bb.1:
	v_cvt_f32_u32_e32 v1, s26
	s_sub_i32 s8, 0, s26
	s_mov_b32 s29, s3
	v_rcp_iflag_f32_e32 v1, v1
	s_nop 0
	v_mul_f32_e32 v1, 0x4f7ffffe, v1
	v_cvt_u32_f32_e32 v1, v1
	s_nop 0
	v_readfirstlane_b32 s9, v1
	s_mul_i32 s8, s8, s9
	s_mul_hi_u32 s8, s9, s8
	s_add_i32 s9, s9, s8
	s_mul_hi_u32 s8, s2, s9
	s_mul_i32 s10, s8, s26
	s_sub_i32 s10, s2, s10
	s_add_i32 s9, s8, 1
	s_sub_i32 s11, s10, s26
	s_cmp_ge_u32 s10, s26
	s_cselect_b32 s8, s9, s8
	s_cselect_b32 s10, s11, s10
	s_add_i32 s9, s8, 1
	s_cmp_ge_u32 s10, s26
	s_cselect_b32 s28, s9, s8
.LBB0_2:
	s_load_dwordx4 s[12:15], s[0:1], 0x58
	s_load_dwordx4 s[16:19], s[0:1], 0x0
	;; [unrolled: 1-line block ×4, first 2 shown]
	s_mul_i32 s0, s28, s27
	s_mul_hi_u32 s1, s28, s26
	s_add_i32 s1, s1, s0
	s_mul_i32 s0, s28, s26
	s_sub_u32 s0, s2, s0
	s_subb_u32 s1, 0, s1
	s_mul_i32 s1, s1, 10
	s_mul_hi_u32 s30, s0, 10
	s_add_i32 s31, s30, s1
	s_mul_i32 s30, s0, 10
	s_waitcnt lgkmcnt(0)
	s_mul_i32 s0, s22, s31
	s_mul_hi_u32 s1, s22, s30
	s_add_i32 s0, s1, s0
	s_mul_i32 s1, s23, s30
	s_add_i32 s53, s0, s1
	s_mul_i32 s0, s10, s31
	s_mul_hi_u32 s1, s10, s30
	s_add_i32 s0, s1, s0
	s_mul_i32 s1, s11, s30
	s_add_i32 s33, s0, s1
	v_cmp_lt_u64_e64 s[0:1], s[18:19], 3
	s_mul_i32 s54, s22, s30
	s_mul_i32 s52, s10, s30
	s_and_b64 vcc, exec, s[0:1]
	s_cbranch_vccnz .LBB0_10
; %bb.3:
	s_add_u32 s34, s36, 16
	s_addc_u32 s35, s37, 0
	s_add_u32 s38, s6, 16
	s_addc_u32 s39, s7, 0
	;; [unrolled: 2-line block ×3, first 2 shown]
	s_mov_b64 s[42:43], 2
	s_mov_b32 s44, 0
	v_mov_b64_e32 v[2:3], s[18:19]
	s_mov_b64 s[4:5], s[26:27]
	s_mov_b64 s[46:47], s[28:29]
.LBB0_4:                                ; =>This Inner Loop Header: Depth=1
	s_load_dwordx2 s[48:49], s[40:41], 0x0
	s_waitcnt lgkmcnt(0)
	s_or_b64 s[0:1], s[46:47], s[48:49]
	s_mov_b32 s45, s1
	s_cmp_lg_u64 s[44:45], 0
	s_cbranch_scc0 .LBB0_9
; %bb.5:                                ;   in Loop: Header=BB0_4 Depth=1
	v_cvt_f32_u32_e32 v1, s48
	v_cvt_f32_u32_e32 v4, s49
	s_sub_u32 s0, 0, s48
	s_subb_u32 s1, 0, s49
	v_fmac_f32_e32 v1, 0x4f800000, v4
	v_rcp_f32_e32 v1, v1
	s_nop 0
	v_mul_f32_e32 v1, 0x5f7ffffc, v1
	v_mul_f32_e32 v4, 0x2f800000, v1
	v_trunc_f32_e32 v4, v4
	v_fmac_f32_e32 v1, 0xcf800000, v4
	v_cvt_u32_f32_e32 v4, v4
	v_cvt_u32_f32_e32 v1, v1
	v_readfirstlane_b32 s29, v4
	v_readfirstlane_b32 s45, v1
	s_mul_i32 s50, s0, s29
	s_mul_hi_u32 s55, s0, s45
	s_mul_i32 s51, s1, s45
	s_add_i32 s50, s55, s50
	s_mul_i32 s56, s0, s45
	s_add_i32 s50, s50, s51
	s_mul_hi_u32 s51, s45, s50
	s_mul_i32 s55, s45, s50
	s_mul_hi_u32 s45, s45, s56
	s_add_u32 s45, s45, s55
	s_addc_u32 s51, 0, s51
	s_mul_hi_u32 s57, s29, s56
	s_mul_i32 s56, s29, s56
	s_add_u32 s45, s45, s56
	s_mul_hi_u32 s55, s29, s50
	s_addc_u32 s45, s51, s57
	s_addc_u32 s51, s55, 0
	s_mul_i32 s50, s29, s50
	s_add_u32 s45, s45, s50
	s_addc_u32 s50, 0, s51
	v_add_co_u32_e32 v1, vcc, s45, v1
	s_cmp_lg_u64 vcc, 0
	s_addc_u32 s29, s29, s50
	v_readfirstlane_b32 s50, v1
	s_mul_i32 s45, s0, s29
	s_mul_hi_u32 s51, s0, s50
	s_add_i32 s45, s51, s45
	s_mul_i32 s1, s1, s50
	s_add_i32 s45, s45, s1
	s_mul_i32 s0, s0, s50
	s_mul_hi_u32 s51, s29, s0
	s_mul_i32 s55, s29, s0
	s_mul_i32 s57, s50, s45
	s_mul_hi_u32 s0, s50, s0
	s_mul_hi_u32 s56, s50, s45
	s_add_u32 s0, s0, s57
	s_addc_u32 s50, 0, s56
	s_add_u32 s0, s0, s55
	s_mul_hi_u32 s1, s29, s45
	s_addc_u32 s0, s50, s51
	s_addc_u32 s1, s1, 0
	s_mul_i32 s45, s29, s45
	s_add_u32 s0, s0, s45
	s_addc_u32 s1, 0, s1
	v_add_co_u32_e32 v1, vcc, s0, v1
	s_cmp_lg_u64 vcc, 0
	s_addc_u32 s0, s29, s1
	v_readfirstlane_b32 s45, v1
	s_mul_i32 s29, s46, s0
	s_mul_hi_u32 s50, s46, s45
	s_mul_hi_u32 s1, s46, s0
	s_add_u32 s29, s50, s29
	s_addc_u32 s1, 0, s1
	s_mul_hi_u32 s51, s47, s45
	s_mul_i32 s45, s47, s45
	s_add_u32 s29, s29, s45
	s_mul_hi_u32 s50, s47, s0
	s_addc_u32 s1, s1, s51
	s_addc_u32 s29, s50, 0
	s_mul_i32 s0, s47, s0
	s_add_u32 s45, s1, s0
	s_addc_u32 s29, 0, s29
	s_mul_i32 s0, s48, s29
	s_mul_hi_u32 s1, s48, s45
	s_add_i32 s0, s1, s0
	s_mul_i32 s1, s49, s45
	s_add_i32 s50, s0, s1
	s_mul_i32 s1, s48, s45
	v_mov_b32_e32 v1, s1
	s_sub_i32 s0, s47, s50
	v_sub_co_u32_e32 v1, vcc, s46, v1
	s_cmp_lg_u64 vcc, 0
	s_subb_u32 s51, s0, s49
	v_subrev_co_u32_e64 v4, s[0:1], s48, v1
	s_cmp_lg_u64 s[0:1], 0
	s_subb_u32 s0, s51, 0
	s_cmp_ge_u32 s0, s49
	v_readfirstlane_b32 s51, v4
	s_cselect_b32 s1, -1, 0
	s_cmp_ge_u32 s51, s48
	s_cselect_b32 s51, -1, 0
	s_cmp_eq_u32 s0, s49
	s_cselect_b32 s0, s51, s1
	s_add_u32 s1, s45, 1
	s_addc_u32 s51, s29, 0
	s_add_u32 s55, s45, 2
	s_addc_u32 s56, s29, 0
	s_cmp_lg_u32 s0, 0
	s_cselect_b32 s0, s55, s1
	s_cselect_b32 s1, s56, s51
	s_cmp_lg_u64 vcc, 0
	s_subb_u32 s50, s47, s50
	s_cmp_ge_u32 s50, s49
	v_readfirstlane_b32 s55, v1
	s_cselect_b32 s51, -1, 0
	s_cmp_ge_u32 s55, s48
	s_cselect_b32 s55, -1, 0
	s_cmp_eq_u32 s50, s49
	s_cselect_b32 s50, s55, s51
	s_cmp_lg_u32 s50, 0
	s_cselect_b32 s1, s1, s29
	s_cselect_b32 s0, s0, s45
	s_cbranch_execnz .LBB0_7
.LBB0_6:                                ;   in Loop: Header=BB0_4 Depth=1
	v_cvt_f32_u32_e32 v1, s48
	s_sub_i32 s0, 0, s48
	v_rcp_iflag_f32_e32 v1, v1
	s_nop 0
	v_mul_f32_e32 v1, 0x4f7ffffe, v1
	v_cvt_u32_f32_e32 v1, v1
	s_nop 0
	v_readfirstlane_b32 s1, v1
	s_mul_i32 s0, s0, s1
	s_mul_hi_u32 s0, s1, s0
	s_add_i32 s1, s1, s0
	s_mul_hi_u32 s0, s46, s1
	s_mul_i32 s29, s0, s48
	s_sub_i32 s29, s46, s29
	s_add_i32 s1, s0, 1
	s_sub_i32 s45, s29, s48
	s_cmp_ge_u32 s29, s48
	s_cselect_b32 s0, s1, s0
	s_cselect_b32 s29, s45, s29
	s_add_i32 s1, s0, 1
	s_cmp_ge_u32 s29, s48
	s_cselect_b32 s0, s1, s0
	s_mov_b32 s1, s44
.LBB0_7:                                ;   in Loop: Header=BB0_4 Depth=1
	s_mul_i32 s5, s48, s5
	s_mul_hi_u32 s29, s48, s4
	s_add_i32 s5, s29, s5
	s_mul_i32 s29, s49, s4
	s_add_i32 s5, s5, s29
	s_mul_i32 s29, s0, s49
	s_mul_hi_u32 s45, s0, s48
	s_load_dwordx2 s[50:51], s[38:39], 0x0
	s_add_i32 s29, s45, s29
	s_mul_i32 s45, s1, s48
	s_add_i32 s29, s29, s45
	s_mul_i32 s45, s0, s48
	s_sub_u32 s45, s46, s45
	s_subb_u32 s29, s47, s29
	s_waitcnt lgkmcnt(0)
	s_mul_i32 s46, s50, s29
	s_mul_hi_u32 s47, s50, s45
	s_mul_i32 s4, s48, s4
	s_add_i32 s48, s47, s46
	s_load_dwordx2 s[46:47], s[34:35], 0x0
	s_mul_i32 s49, s51, s45
	s_add_i32 s48, s48, s49
	s_mul_i32 s49, s50, s45
	s_add_u32 s54, s49, s54
	s_addc_u32 s53, s48, s53
	s_waitcnt lgkmcnt(0)
	s_mul_i32 s29, s46, s29
	s_mul_hi_u32 s48, s46, s45
	s_add_i32 s29, s48, s29
	s_mul_i32 s47, s47, s45
	s_add_i32 s29, s29, s47
	s_mul_i32 s45, s46, s45
	s_add_u32 s52, s45, s52
	s_addc_u32 s33, s29, s33
	s_add_u32 s42, s42, 1
	s_addc_u32 s43, s43, 0
	;; [unrolled: 2-line block ×4, first 2 shown]
	s_add_u32 s40, s40, 8
	v_cmp_ge_u64_e32 vcc, s[42:43], v[2:3]
	s_addc_u32 s41, s41, 0
	s_cbranch_vccnz .LBB0_11
; %bb.8:                                ;   in Loop: Header=BB0_4 Depth=1
	s_mov_b64 s[46:47], s[0:1]
	s_branch .LBB0_4
.LBB0_9:                                ;   in Loop: Header=BB0_4 Depth=1
                                        ; implicit-def: $sgpr0_sgpr1
	s_branch .LBB0_6
.LBB0_10:
	s_mov_b64 s[34:35], s[28:29]
	s_branch .LBB0_13
.LBB0_11:
	v_mov_b64_e32 v[2:3], s[4:5]
	v_cmp_lt_u64_e32 vcc, s[2:3], v[2:3]
	s_mov_b64 s[34:35], 0
	s_cbranch_vccnz .LBB0_13
; %bb.12:
	v_cvt_f32_u32_e32 v1, s4
	s_sub_i32 s0, 0, s4
	v_rcp_iflag_f32_e32 v1, v1
	s_nop 0
	v_mul_f32_e32 v1, 0x4f7ffffe, v1
	v_cvt_u32_f32_e32 v1, v1
	s_nop 0
	v_readfirstlane_b32 s1, v1
	s_mul_i32 s0, s0, s1
	s_mul_hi_u32 s0, s1, s0
	s_add_i32 s1, s1, s0
	s_mul_hi_u32 s0, s2, s1
	s_mul_i32 s3, s0, s4
	s_sub_i32 s3, s2, s3
	s_add_i32 s1, s0, 1
	s_sub_i32 s5, s3, s4
	s_cmp_ge_u32 s3, s4
	s_cselect_b32 s0, s1, s0
	s_cselect_b32 s3, s5, s3
	s_add_i32 s1, s0, 1
	s_cmp_ge_u32 s3, s4
	s_cselect_b32 s34, s1, s0
.LBB0_13:
	s_lshl_b64 s[0:1], s[18:19], 3
	s_add_u32 s4, s6, s0
	s_addc_u32 s5, s7, s1
	s_load_dwordx2 s[4:5], s[4:5], 0x0
	v_mul_u32_u24_e32 v1, 0x199a, v0
	v_mov_b64_e32 v[2:3], s[24:25]
	v_lshrrev_b32_e32 v6, 16, v1
	v_mul_lo_u16_e32 v1, 10, v6
	s_waitcnt lgkmcnt(0)
	s_mul_i32 s3, s5, s34
	s_mul_hi_u32 s5, s4, s34
	s_mul_i32 s4, s4, s34
	s_add_i32 s5, s5, s3
	s_add_u32 s4, s4, s54
	s_addc_u32 s5, s5, s53
	s_add_u32 s0, s36, s0
	s_addc_u32 s1, s37, s1
	s_load_dwordx2 s[18:19], s[0:1], 0x0
	s_add_u32 s36, s30, 10
	s_addc_u32 s37, s31, 0
	v_cmp_le_u64_e64 s[0:1], s[36:37], v[2:3]
	v_sub_u16_e32 v4, v0, v1
	v_mov_b32_e32 v5, 0
	s_and_b64 vcc, exec, s[0:1]
	s_cbranch_vccz .LBB0_17
; %bb.14:
	v_mad_u64_u32 v[2:3], s[6:7], s22, v4, 0
	v_mov_b32_e32 v8, v3
	v_mad_u64_u32 v[8:9], s[6:7], s23, v4, v[8:9]
	v_mov_b32_e32 v3, v8
	;; [unrolled: 2-line block ×3, first 2 shown]
	v_mad_u64_u32 v[10:11], s[6:7], s21, v6, v[10:11]
	s_lshl_b64 s[6:7], s[4:5], 2
	s_add_u32 s6, s12, s6
	s_addc_u32 s7, s13, s7
	v_add_u32_e32 v1, 40, v6
	v_mov_b32_e32 v9, v10
	v_lshl_add_u64 v[2:3], v[2:3], 2, s[6:7]
	v_mad_u64_u32 v[10:11], s[6:7], s20, v1, 0
	v_mov_b32_e32 v12, v11
	v_mad_u64_u32 v[12:13], s[6:7], s21, v1, v[12:13]
	v_add_u32_e32 v1, 0x50, v6
	v_mov_b32_e32 v11, v12
	v_mad_u64_u32 v[12:13], s[6:7], s20, v1, 0
	v_mov_b32_e32 v14, v13
	v_mad_u64_u32 v[14:15], s[6:7], s21, v1, v[14:15]
	v_add_u32_e32 v1, 0x78, v6
	v_mov_b32_e32 v13, v14
	;; [unrolled: 5-line block ×3, first 2 shown]
	v_mad_u64_u32 v[16:17], s[6:7], s20, v1, 0
	v_mov_b32_e32 v18, v17
	v_mad_u64_u32 v[18:19], s[6:7], s21, v1, v[18:19]
	v_lshl_add_u64 v[8:9], v[8:9], 2, v[2:3]
	v_mov_b32_e32 v17, v18
	v_lshl_add_u64 v[10:11], v[10:11], 2, v[2:3]
	v_lshl_add_u64 v[12:13], v[12:13], 2, v[2:3]
	v_lshl_add_u64 v[14:15], v[14:15], 2, v[2:3]
	v_lshl_add_u64 v[16:17], v[16:17], 2, v[2:3]
	global_load_dword v1, v[8:9], off
	global_load_dword v18, v[10:11], off
	;; [unrolled: 1-line block ×5, first 2 shown]
	v_mul_u32_u24_e32 v7, 0x324, v4
	v_lshlrev_b32_e32 v8, 2, v6
	v_cmp_gt_u32_e32 vcc, 10, v0
	s_mov_b64 s[6:7], 0
	v_add3_u32 v8, 0, v7, v8
	s_mov_b64 s[38:39], 0
	s_waitcnt vmcnt(3)
	ds_write2_b32 v8, v1, v18 offset1:40
	s_waitcnt vmcnt(1)
	ds_write2_b32 v8, v19, v20 offset0:80 offset1:120
	s_waitcnt vmcnt(0)
	ds_write_b32 v8, v21 offset:640
                                        ; implicit-def: $vgpr1
	s_and_saveexec_b64 s[40:41], vcc
; %bb.15:
	s_mov_b64 s[38:39], exec
	v_or_b32_e32 v1, 0xc8, v6
; %bb.16:
	s_or_b64 exec, exec, s[40:41]
	s_and_b64 vcc, exec, s[6:7]
	s_cbranch_vccnz .LBB0_18
	s_branch .LBB0_26
.LBB0_17:
	s_mov_b64 s[38:39], 0
                                        ; implicit-def: $vgpr7
                                        ; implicit-def: $vgpr2_vgpr3
                                        ; implicit-def: $vgpr1
	s_cbranch_execz .LBB0_26
.LBB0_18:
	v_lshl_add_u64 v[2:3], s[30:31], 0, v[4:5]
	v_cmp_gt_u64_e32 vcc, s[24:25], v[2:3]
                                        ; implicit-def: $vgpr7
                                        ; implicit-def: $vgpr2_vgpr3
                                        ; implicit-def: $vgpr1
	s_and_saveexec_b64 s[40:41], vcc
	s_cbranch_execz .LBB0_25
; %bb.19:
	v_mad_u64_u32 v[2:3], s[6:7], s22, v4, 0
	v_mov_b32_e32 v8, v3
	v_mad_u64_u32 v[8:9], s[6:7], s23, v4, v[8:9]
	v_mov_b32_e32 v3, v8
	v_mad_u64_u32 v[8:9], s[6:7], s20, v6, 0
	s_lshl_b64 s[4:5], s[4:5], 2
	v_mov_b32_e32 v10, v9
	s_add_u32 s4, s12, s4
	v_mad_u64_u32 v[10:11], s[6:7], s21, v6, v[10:11]
	s_addc_u32 s5, s13, s5
	v_add_u32_e32 v1, 40, v6
	v_mov_b32_e32 v9, v10
	v_lshl_add_u64 v[2:3], v[2:3], 2, s[4:5]
	v_mad_u64_u32 v[10:11], s[4:5], s20, v1, 0
	v_mov_b32_e32 v12, v11
	v_mad_u64_u32 v[12:13], s[4:5], s21, v1, v[12:13]
	v_add_u32_e32 v1, 0x50, v6
	v_mov_b32_e32 v11, v12
	v_mad_u64_u32 v[12:13], s[4:5], s20, v1, 0
	v_mov_b32_e32 v14, v13
	v_mad_u64_u32 v[14:15], s[4:5], s21, v1, v[14:15]
	v_add_u32_e32 v1, 0x78, v6
	v_mov_b32_e32 v13, v14
	v_mad_u64_u32 v[14:15], s[4:5], s20, v1, 0
	v_mov_b32_e32 v16, v15
	v_mad_u64_u32 v[16:17], s[4:5], s21, v1, v[16:17]
	v_add_u32_e32 v1, 0xa0, v6
	v_mov_b32_e32 v15, v16
	v_mad_u64_u32 v[16:17], s[4:5], s20, v1, 0
	v_mov_b32_e32 v18, v17
	v_mad_u64_u32 v[18:19], s[4:5], s21, v1, v[18:19]
	v_lshl_add_u64 v[8:9], v[8:9], 2, v[2:3]
	v_mov_b32_e32 v17, v18
	v_lshl_add_u64 v[10:11], v[10:11], 2, v[2:3]
	v_lshl_add_u64 v[12:13], v[12:13], 2, v[2:3]
	;; [unrolled: 1-line block ×4, first 2 shown]
	global_load_dword v1, v[8:9], off
	global_load_dword v5, v[10:11], off
	;; [unrolled: 1-line block ×5, first 2 shown]
	s_or_b64 s[6:7], s[36:37], s[24:25]
	v_mul_u32_u24_e32 v7, 0x324, v4
	s_mov_b32 s4, 0
	v_lshlrev_b32_e32 v4, 2, v6
	s_mov_b32 s5, s7
	v_add3_u32 v4, 0, v7, v4
	s_cmp_lg_u64 s[4:5], 0
	s_waitcnt vmcnt(3)
	ds_write2_b32 v4, v1, v5 offset1:40
	s_waitcnt vmcnt(1)
	ds_write2_b32 v4, v18, v19 offset0:80 offset1:120
	s_waitcnt vmcnt(0)
	ds_write_b32 v4, v20 offset:640
	s_cbranch_scc0 .LBB0_50
; %bb.20:
	v_cvt_f32_u32_e32 v1, s24
	v_cvt_f32_u32_e32 v4, s25
	s_sub_u32 s3, 0, s24
	s_subb_u32 s4, 0, s25
	v_fmamk_f32 v1, v4, 0x4f800000, v1
	v_rcp_f32_e32 v1, v1
	s_nop 0
	v_mul_f32_e32 v1, 0x5f7ffffc, v1
	v_mul_f32_e32 v4, 0x2f800000, v1
	v_trunc_f32_e32 v4, v4
	v_fmamk_f32 v1, v4, 0xcf800000, v1
	v_cvt_u32_f32_e32 v4, v4
	v_cvt_u32_f32_e32 v1, v1
	v_readfirstlane_b32 s5, v4
	v_readfirstlane_b32 s6, v1
	s_mul_i32 s7, s3, s5
	s_mul_hi_u32 s23, s3, s6
	s_mul_i32 s22, s4, s6
	s_add_i32 s7, s23, s7
	s_add_i32 s7, s7, s22
	s_mul_i32 s29, s3, s6
	s_mul_hi_u32 s22, s6, s7
	s_mul_i32 s23, s6, s7
	s_mul_hi_u32 s6, s6, s29
	s_add_u32 s6, s6, s23
	s_addc_u32 s22, 0, s22
	s_mul_hi_u32 s35, s5, s29
	s_mul_i32 s29, s5, s29
	s_add_u32 s6, s6, s29
	s_mul_hi_u32 s23, s5, s7
	s_addc_u32 s6, s22, s35
	s_addc_u32 s22, s23, 0
	s_mul_i32 s7, s5, s7
	s_add_u32 s6, s6, s7
	s_addc_u32 s7, 0, s22
	v_add_co_u32_e32 v1, vcc, s6, v1
	s_cmp_lg_u64 vcc, 0
	s_addc_u32 s5, s5, s7
	v_readfirstlane_b32 s7, v1
	s_mul_i32 s6, s3, s5
	s_mul_hi_u32 s22, s3, s7
	s_add_i32 s6, s22, s6
	s_mul_i32 s4, s4, s7
	s_add_i32 s6, s6, s4
	s_mul_i32 s3, s3, s7
	s_mul_hi_u32 s22, s5, s3
	s_mul_i32 s23, s5, s3
	s_mul_i32 s35, s7, s6
	s_mul_hi_u32 s3, s7, s3
	s_mul_hi_u32 s29, s7, s6
	s_add_u32 s3, s3, s35
	s_addc_u32 s7, 0, s29
	s_add_u32 s3, s3, s23
	s_mul_hi_u32 s4, s5, s6
	s_addc_u32 s3, s7, s22
	s_addc_u32 s4, s4, 0
	s_mul_i32 s6, s5, s6
	s_add_u32 s3, s3, s6
	s_addc_u32 s4, 0, s4
	v_add_co_u32_e32 v1, vcc, s3, v1
	s_cmp_lg_u64 vcc, 0
	s_addc_u32 s3, s5, s4
	v_readfirstlane_b32 s6, v1
	s_mul_i32 s5, s36, s3
	s_mul_hi_u32 s7, s36, s6
	s_mul_hi_u32 s4, s36, s3
	s_add_u32 s5, s7, s5
	s_addc_u32 s4, 0, s4
	s_mul_hi_u32 s22, s37, s6
	s_mul_i32 s6, s37, s6
	s_add_u32 s5, s5, s6
	s_mul_hi_u32 s7, s37, s3
	s_addc_u32 s4, s4, s22
	s_addc_u32 s5, s7, 0
	s_mul_i32 s3, s37, s3
	s_add_u32 s3, s4, s3
	s_addc_u32 s4, 0, s5
	s_mul_i32 s4, s24, s4
	s_mul_hi_u32 s5, s24, s3
	s_add_i32 s4, s5, s4
	s_mul_i32 s5, s25, s3
	s_mul_i32 s3, s24, s3
	s_add_i32 s22, s4, s5
	v_mov_b32_e32 v1, s3
	s_sub_i32 s4, s37, s22
	v_sub_co_u32_e32 v1, vcc, s36, v1
	s_cmp_lg_u64 vcc, 0
	s_subb_u32 s3, s4, s25
	v_subrev_co_u32_e64 v4, s[4:5], s24, v1
	s_cmp_lg_u64 s[4:5], 0
	s_subb_u32 s23, s3, 0
	s_cmp_ge_u32 s23, s25
	s_cselect_b32 s29, -1, 0
	v_cmp_le_u32_e64 s[6:7], s24, v4
	s_cmp_eq_u32 s23, s25
	v_mov_b32_e32 v8, s29
	v_cndmask_b32_e64 v5, 0, -1, s[6:7]
	s_cselect_b64 s[6:7], -1, 0
	s_cmp_lg_u64 s[4:5], 0
	v_cndmask_b32_e64 v5, v8, v5, s[6:7]
	s_subb_u32 s3, s3, s25
	v_subrev_co_u32_e64 v8, s[4:5], s24, v4
	s_cmp_lg_u64 s[4:5], 0
	s_subb_u32 s3, s3, 0
	v_cmp_ne_u32_e64 s[4:5], 0, v5
	s_cmp_lg_u64 vcc, 0
	v_mov_b32_e32 v5, s23
	v_cndmask_b32_e64 v4, v4, v8, s[4:5]
	v_mov_b32_e32 v8, s3
	s_subb_u32 s3, s37, s22
	s_cmp_ge_u32 s3, s25
	v_cndmask_b32_e64 v5, v5, v8, s[4:5]
	s_cselect_b32 s4, -1, 0
	v_cmp_le_u32_e32 vcc, s24, v1
	s_cmp_eq_u32 s3, s25
	v_mov_b32_e32 v9, s4
	v_cndmask_b32_e64 v8, 0, -1, vcc
	s_cselect_b64 vcc, -1, 0
	v_cndmask_b32_e32 v8, v9, v8, vcc
	v_mov_b32_e32 v9, s3
	v_cmp_ne_u32_e32 vcc, 0, v8
	s_nop 1
	v_cndmask_b32_e32 v5, v9, v5, vcc
	v_cndmask_b32_e32 v4, v1, v4, vcc
	s_cbranch_execnz .LBB0_22
.LBB0_21:
	v_cvt_f32_u32_e32 v1, s24
	s_sub_i32 s3, 0, s24
	v_mov_b32_e32 v5, 0
	v_rcp_iflag_f32_e32 v1, v1
	s_nop 0
	v_mul_f32_e32 v1, 0x4f7ffffe, v1
	v_cvt_u32_f32_e32 v1, v1
	v_mul_lo_u32 v4, s3, v1
	v_mul_hi_u32 v4, v1, v4
	v_add_u32_e32 v1, v1, v4
	v_mul_hi_u32 v1, s36, v1
	v_mul_lo_u32 v1, v1, s24
	v_sub_u32_e32 v1, s36, v1
	v_subrev_u32_e32 v4, s24, v1
	v_cmp_le_u32_e32 vcc, s24, v1
	s_nop 1
	v_cndmask_b32_e32 v1, v1, v4, vcc
	v_subrev_u32_e32 v4, s24, v1
	v_cmp_le_u32_e32 vcc, s24, v1
	s_nop 1
	v_cndmask_b32_e32 v4, v1, v4, vcc
.LBB0_22:
	v_sub_co_u32_e32 v4, vcc, 10, v4
	v_mov_b32_e32 v1, 0
	s_nop 0
	v_subb_co_u32_e32 v5, vcc, 0, v5, vcc
	v_cmp_gt_u64_e32 vcc, v[4:5], v[0:1]
	s_mov_b64 s[4:5], s[38:39]
                                        ; implicit-def: $vgpr1
	s_and_saveexec_b64 s[6:7], vcc
; %bb.23:
	v_add_u32_e32 v1, 0xc8, v6
	s_or_b64 s[4:5], s[38:39], exec
; %bb.24:
	s_or_b64 exec, exec, s[6:7]
	s_andn2_b64 s[6:7], s[38:39], exec
	s_and_b64 s[4:5], s[4:5], exec
	s_or_b64 s[38:39], s[6:7], s[4:5]
.LBB0_25:
	s_or_b64 exec, exec, s[40:41]
.LBB0_26:
	s_and_saveexec_b64 s[4:5], s[38:39]
	s_cbranch_execz .LBB0_28
; %bb.27:
	v_mad_u64_u32 v[4:5], s[6:7], s20, v1, 0
	v_mov_b32_e32 v6, v5
	v_mad_u64_u32 v[8:9], s[6:7], s21, v1, v[6:7]
	v_mov_b32_e32 v5, v8
	v_lshl_add_u64 v[2:3], v[4:5], 2, v[2:3]
	global_load_dword v1, v[2:3], off
	v_add_u32_e32 v2, 0, v7
	s_waitcnt vmcnt(0)
	ds_write_b32 v2, v1 offset:800
.LBB0_28:
	s_or_b64 exec, exec, s[4:5]
	s_movk_i32 s3, 0x667
	v_mul_u32_u24_sdwa v1, v0, s3 dst_sel:DWORD dst_unused:UNUSED_PAD src0_sel:WORD_0 src1_sel:DWORD
	s_add_u32 s3, 0, 0x99986000
	s_addc_u32 s4, 0, 0x59
	s_add_i32 s4, s4, 0x19999940
	s_mul_hi_u32 s12, s3, -10
	s_sub_i32 s12, s12, s3
	s_mul_i32 s13, s4, -10
	s_mul_i32 s5, s3, -10
	s_add_i32 s12, s12, s13
	s_mul_hi_u32 s6, s4, s5
	s_mul_i32 s7, s4, s5
	s_mul_i32 s20, s3, s12
	s_mul_hi_u32 s5, s3, s5
	s_mul_hi_u32 s13, s3, s12
	s_add_u32 s5, s5, s20
	s_addc_u32 s13, 0, s13
	s_add_u32 s5, s5, s7
	s_mul_hi_u32 s20, s4, s12
	s_addc_u32 s5, s13, s6
	s_addc_u32 s6, s20, 0
	s_mul_i32 s7, s4, s12
	s_add_u32 s5, s5, s7
	v_lshrrev_b32_e32 v2, 16, v1
	v_mov_b32_e32 v1, s5
	s_addc_u32 s6, 0, s6
	v_add_co_u32_e32 v1, vcc, s3, v1
	v_mov_b32_e32 v3, 0
	s_cmp_lg_u64 vcc, 0
	v_lshl_add_u64 v[4:5], s[30:31], 0, v[2:3]
	s_addc_u32 s3, s4, s6
	v_mad_u64_u32 v[6:7], s[4:5], v4, s3, 0
	v_mul_hi_u32 v8, v4, v1
	v_mov_b32_e32 v9, v3
	v_lshl_add_u64 v[6:7], v[8:9], 0, v[6:7]
	v_mad_u64_u32 v[10:11], s[4:5], v5, v1, 0
	v_add_co_u32_e32 v1, vcc, v6, v10
	v_mad_u64_u32 v[8:9], s[4:5], v5, s3, 0
	s_nop 0
	v_addc_co_u32_e32 v6, vcc, v7, v11, vcc
	v_mov_b32_e32 v7, v3
	s_nop 0
	v_addc_co_u32_e32 v9, vcc, 0, v9, vcc
	v_lshl_add_u64 v[6:7], v[6:7], 0, v[8:9]
	v_mad_u64_u32 v[8:9], s[4:5], v6, 10, 0
	v_mov_b32_e32 v6, v9
	v_mad_u64_u32 v[6:7], s[4:5], v7, 10, v[6:7]
	v_sub_co_u32_e32 v1, vcc, v4, v8
	s_waitcnt lgkmcnt(0)
	s_nop 0
	v_subb_co_u32_e32 v3, vcc, v5, v6, vcc
	v_subrev_co_u32_e32 v4, vcc, 10, v1
	s_barrier
	s_nop 0
	v_subbrev_co_u32_e32 v5, vcc, 0, v3, vcc
	v_cmp_lt_u32_e32 vcc, 9, v4
	s_nop 1
	v_cndmask_b32_e64 v6, 0, -1, vcc
	v_cmp_eq_u32_e32 vcc, 0, v5
	s_nop 1
	v_cndmask_b32_e32 v5, -1, v6, vcc
	v_add_u32_e32 v6, -10, v4
	v_cmp_ne_u32_e32 vcc, 0, v5
	s_nop 1
	v_cndmask_b32_e32 v4, v4, v6, vcc
	v_cmp_lt_u32_e32 vcc, 9, v1
	s_nop 1
	v_cndmask_b32_e64 v5, 0, -1, vcc
	v_cmp_eq_u32_e32 vcc, 0, v3
	s_nop 1
	v_cndmask_b32_e32 v3, -1, v5, vcc
	v_cmp_ne_u32_e32 vcc, 0, v3
	s_nop 1
	v_cndmask_b32_e32 v1, v1, v4, vcc
	v_mul_u32_u24_e32 v10, 0xc9, v1
	v_mul_lo_u16_e32 v1, 40, v2
	v_sub_u16_e32 v8, v0, v1
	v_lshl_add_u32 v6, v10, 2, 0
	v_lshlrev_b32_e32 v2, 2, v8
	v_add_u32_e32 v1, v6, v2
	v_sub_u32_e32 v4, v6, v2
	ds_read_u16 v7, v1
	ds_read_u16 v9, v4 offset:800
	v_cmp_ne_u16_e32 vcc, 0, v8
	s_waitcnt lgkmcnt(0)
	v_add_f16_e32 v3, v9, v7
	v_sub_f16_e32 v5, v7, v9
	s_and_saveexec_b64 s[4:5], vcc
	s_xor_b64 s[4:5], exec, s[4:5]
	s_cbranch_execz .LBB0_30
; %bb.29:
	global_load_dword v6, v2, s[16:17] offset:768
	ds_read_u16 v3, v4 offset:802
	ds_read_u16 v5, v1 offset:2
	v_add_f16_e32 v11, v9, v7
	v_sub_f16_e32 v7, v7, v9
	s_waitcnt lgkmcnt(0)
	v_add_f16_e32 v9, v3, v5
	v_sub_f16_e32 v3, v5, v3
	s_waitcnt vmcnt(0)
	v_lshrrev_b32_e32 v5, 16, v6
	v_fma_f16 v12, v7, v5, v11
	v_fma_f16 v13, v9, v5, v3
	v_fma_f16 v11, -v7, v5, v11
	v_fma_f16 v14, v9, v5, -v3
	v_fma_f16 v3, -v6, v9, v12
	v_fma_f16 v5, v7, v6, v13
	v_fma_f16 v9, v6, v9, v11
	;; [unrolled: 1-line block ×3, first 2 shown]
	v_pack_b32_f16 v6, v9, v6
	ds_write_b32 v4, v6 offset:800
                                        ; implicit-def: $vgpr6
.LBB0_30:
	s_andn2_saveexec_b64 s[4:5], s[4:5]
	s_cbranch_execz .LBB0_32
; %bb.31:
	ds_read_b32 v7, v6 offset:400
	s_mov_b32 s3, 0xc0004000
	s_waitcnt lgkmcnt(0)
	v_pk_mul_f16 v7, v7, s3
	ds_write_b32 v6, v7 offset:400
.LBB0_32:
	s_or_b64 exec, exec, s[4:5]
	s_add_u32 s4, s16, 0x300
	s_addc_u32 s5, s17, 0
	global_load_dword v6, v2, s[4:5] offset:160
	s_mov_b32 s3, 0x5040100
	v_perm_b32 v3, v5, v3, s3
	ds_write_b32 v1, v3
	ds_read_b32 v3, v1 offset:160
	ds_read_b32 v5, v4 offset:640
	v_cmp_gt_u16_e32 vcc, 20, v8
	s_waitcnt lgkmcnt(0)
	v_add_f16_e32 v7, v3, v5
	v_add_f16_sdwa v9, v5, v3 dst_sel:DWORD dst_unused:UNUSED_PAD src0_sel:WORD_1 src1_sel:WORD_1
	v_sub_f16_e32 v11, v3, v5
	v_sub_f16_sdwa v3, v3, v5 dst_sel:DWORD dst_unused:UNUSED_PAD src0_sel:WORD_1 src1_sel:WORD_1
	s_waitcnt vmcnt(0)
	v_lshrrev_b32_e32 v5, 16, v6
	v_fma_f16 v12, v11, v5, v7
	v_fma_f16 v13, v9, v5, v3
	v_fma_f16 v7, -v11, v5, v7
	v_fma_f16 v3, v9, v5, -v3
	v_fma_f16 v5, -v6, v9, v12
	v_fma_f16 v12, v11, v6, v13
	v_fma_f16 v7, v6, v9, v7
	;; [unrolled: 1-line block ×3, first 2 shown]
	v_pack_b32_f16 v5, v5, v12
	v_pack_b32_f16 v3, v7, v3
	ds_write_b32 v1, v5 offset:160
	ds_write_b32 v4, v3 offset:640
	s_and_saveexec_b64 s[6:7], vcc
	s_cbranch_execz .LBB0_34
; %bb.33:
	v_mov_b32_e32 v3, 0
	v_lshl_add_u64 v[2:3], s[4:5], 0, v[2:3]
	global_load_dword v2, v[2:3], off offset:320
	ds_read_b32 v3, v1 offset:320
	ds_read_b32 v5, v4 offset:480
	s_waitcnt lgkmcnt(0)
	v_add_f16_e32 v6, v3, v5
	v_add_f16_sdwa v7, v5, v3 dst_sel:DWORD dst_unused:UNUSED_PAD src0_sel:WORD_1 src1_sel:WORD_1
	v_sub_f16_e32 v9, v3, v5
	v_sub_f16_sdwa v3, v3, v5 dst_sel:DWORD dst_unused:UNUSED_PAD src0_sel:WORD_1 src1_sel:WORD_1
	s_waitcnt vmcnt(0)
	v_lshrrev_b32_e32 v5, 16, v2
	v_fma_f16 v11, v9, v5, v6
	v_fma_f16 v12, v7, v5, v3
	v_fma_f16 v6, -v9, v5, v6
	v_fma_f16 v3, v7, v5, -v3
	v_fma_f16 v5, -v2, v7, v11
	v_fma_f16 v11, v9, v2, v12
	v_fma_f16 v6, v2, v7, v6
	v_fma_f16 v2, v9, v2, v3
	v_pack_b32_f16 v3, v5, v11
	v_pack_b32_f16 v2, v6, v2
	ds_write_b32 v1, v3 offset:320
	ds_write_b32 v4, v2 offset:480
.LBB0_34:
	s_or_b64 exec, exec, s[6:7]
	v_lshl_add_u32 v11, v8, 2, 0
	v_lshl_add_u32 v9, v10, 2, v11
	s_waitcnt lgkmcnt(0)
	s_barrier
	s_barrier
	ds_read2_b32 v[2:3], v9 offset0:25 offset1:50
	ds_read2_b32 v[4:5], v9 offset0:75 offset1:100
	;; [unrolled: 1-line block ×3, first 2 shown]
	ds_read_b32 v12, v1
	ds_read_b32 v13, v9 offset:700
	v_cmp_gt_u16_e32 vcc, 25, v8
	v_lshlrev_b32_e32 v10, 2, v10
	s_waitcnt lgkmcnt(0)
	s_barrier
	s_and_saveexec_b64 s[4:5], vcc
	s_cbranch_execz .LBB0_36
; %bb.35:
	v_pk_add_f16 v5, v12, v5 neg_lo:[0,1] neg_hi:[0,1]
	v_pk_add_f16 v7, v3, v7 neg_lo:[0,1] neg_hi:[0,1]
	;; [unrolled: 1-line block ×4, first 2 shown]
	v_sub_f16_sdwa v14, v5, v7 dst_sel:DWORD dst_unused:UNUSED_PAD src0_sel:DWORD src1_sel:WORD_1
	v_sub_f16_sdwa v15, v6, v13 dst_sel:DWORD dst_unused:UNUSED_PAD src0_sel:DWORD src1_sel:WORD_1
	s_movk_i32 s3, 0x39a8
	v_lshrrev_b32_e32 v17, 16, v6
	v_lshrrev_b32_e32 v20, 16, v5
	v_fma_f16 v16, v15, s3, v14
	v_add_f16_e32 v18, v17, v13
	s_mov_b32 s6, 0xb9a8
	v_add_f16_e32 v21, v20, v7
	v_fma_f16 v16, v18, s6, v16
	v_fma_f16 v22, v18, s3, v21
	v_fma_f16 v19, v14, 2.0, -v16
	v_fma_f16 v22, v15, s3, v22
	v_fma_f16 v14, v5, 2.0, -v14
	v_fma_f16 v15, v6, 2.0, -v15
	v_fma_f16 v24, v15, s6, v14
	v_fma_f16 v17, v17, 2.0, -v18
	v_fma_f16 v20, v20, 2.0, -v21
	v_pk_fma_f16 v5, v12, 2.0, v5 op_sel_hi:[1,0,1] neg_lo:[0,0,1] neg_hi:[0,0,1]
	v_pk_fma_f16 v3, v3, 2.0, v7 op_sel_hi:[1,0,1] neg_lo:[0,0,1] neg_hi:[0,0,1]
	;; [unrolled: 1-line block ×4, first 2 shown]
	v_fma_f16 v18, v17, s6, v24
	v_fma_f16 v17, v17, s6, v20
	v_pk_add_f16 v3, v5, v3 neg_lo:[0,1] neg_hi:[0,1]
	v_pk_add_f16 v4, v2, v4 neg_lo:[0,1] neg_hi:[0,1]
	v_fma_f16 v15, v15, s3, v17
	v_lshrrev_b32_e32 v7, 16, v3
	v_pk_fma_f16 v5, v5, 2.0, v3 op_sel_hi:[1,0,1] neg_lo:[0,0,1] neg_hi:[0,0,1]
	v_pk_fma_f16 v2, v2, 2.0, v4 op_sel_hi:[1,0,1] neg_lo:[0,0,1] neg_hi:[0,0,1]
	v_fma_f16 v14, v14, 2.0, -v18
	v_fma_f16 v17, v20, 2.0, -v15
	v_mul_u32_u24_e32 v20, 28, v8
	v_sub_f16_sdwa v6, v3, v4 dst_sel:DWORD dst_unused:UNUSED_PAD src0_sel:DWORD src1_sel:WORD_1
	v_add_f16_e32 v12, v7, v4
	v_pk_add_f16 v2, v5, v2 neg_lo:[0,1] neg_hi:[0,1]
	v_fma_f16 v23, v21, 2.0, -v22
	v_add3_u32 v11, v11, v20, v10
	v_fma_f16 v3, v3, 2.0, -v6
	v_fma_f16 v4, v7, 2.0, -v12
	v_pk_fma_f16 v5, v5, 2.0, v2 op_sel_hi:[1,0,1] neg_lo:[0,0,1] neg_hi:[0,0,1]
	v_pack_b32_f16 v7, v14, v17
	ds_write2_b32 v11, v5, v7 offset1:1
	v_pack_b32_f16 v5, v19, v23
	v_pack_b32_f16 v3, v3, v4
	ds_write2_b32 v11, v3, v5 offset0:2 offset1:3
	v_pack_b32_f16 v3, v18, v15
	ds_write2_b32 v11, v2, v3 offset0:4 offset1:5
	v_pack_b32_f16 v2, v16, v22
	v_pack_b32_f16 v3, v6, v12
	ds_write2_b32 v11, v3, v2 offset0:6 offset1:7
.LBB0_36:
	s_or_b64 exec, exec, s[4:5]
	v_and_b32_e32 v11, 7, v8
	v_lshlrev_b32_e32 v2, 4, v11
	s_waitcnt lgkmcnt(0)
	s_barrier
	global_load_dwordx4 v[2:5], v2, s[16:17]
	ds_read_b32 v14, v1
	ds_read_u16 v15, v1 offset:2
	ds_read2_b32 v[6:7], v9 offset0:40 offset1:80
	ds_read2_b32 v[12:13], v9 offset0:120 offset1:160
	s_movk_i32 s6, 0x3b9c
	s_mov_b32 s12, 0xbb9c
	s_movk_i32 s3, 0x38b4
	s_waitcnt lgkmcnt(1)
	v_lshrrev_b32_e32 v16, 16, v6
	v_lshrrev_b32_e32 v17, 16, v7
	s_waitcnt lgkmcnt(0)
	v_lshrrev_b32_e32 v18, 16, v12
	v_lshrrev_b32_e32 v19, 16, v13
	s_mov_b32 s13, 0xb8b4
	s_movk_i32 s7, 0x34f2
	s_barrier
	s_mul_i32 s4, s19, s34
	s_mul_hi_u32 s5, s18, s34
	s_add_i32 s5, s5, s4
	s_waitcnt vmcnt(0)
	v_mul_f16_sdwa v20, v2, v16 dst_sel:DWORD dst_unused:UNUSED_PAD src0_sel:WORD_1 src1_sel:DWORD
	v_mul_f16_sdwa v21, v2, v6 dst_sel:DWORD dst_unused:UNUSED_PAD src0_sel:WORD_1 src1_sel:DWORD
	;; [unrolled: 1-line block ×8, first 2 shown]
	v_fma_f16 v6, v2, v6, -v20
	v_fma_f16 v2, v2, v16, v21
	v_fma_f16 v7, v3, v7, -v22
	v_fma_f16 v3, v3, v17, v23
	v_fma_f16 v12, v4, v12, -v24
	v_fma_f16 v4, v4, v18, v25
	v_fma_f16 v13, v5, v13, -v26
	v_fma_f16 v5, v5, v19, v27
	v_add_f16_e32 v16, v6, v14
	v_add_f16_e32 v17, v7, v12
	v_sub_f16_e32 v20, v6, v7
	v_sub_f16_e32 v21, v13, v12
	v_add_f16_e32 v22, v6, v13
	v_add_f16_e32 v26, v3, v4
	;; [unrolled: 1-line block ×3, first 2 shown]
	v_sub_f16_e32 v18, v2, v5
	v_sub_f16_e32 v19, v3, v4
	;; [unrolled: 1-line block ×4, first 2 shown]
	v_add_f16_e32 v25, v15, v2
	v_sub_f16_e32 v27, v7, v12
	v_add_f16_e32 v7, v16, v7
	v_fma_f16 v16, v17, -0.5, v14
	v_add_f16_e32 v17, v20, v21
	v_fma_f16 v14, v22, -0.5, v14
	v_fma_f16 v21, v26, -0.5, v15
	;; [unrolled: 1-line block ×3, first 2 shown]
	v_sub_f16_e32 v6, v6, v13
	v_sub_f16_e32 v28, v2, v3
	;; [unrolled: 1-line block ×4, first 2 shown]
	v_add_f16_e32 v20, v23, v24
	v_add_f16_e32 v3, v25, v3
	;; [unrolled: 1-line block ×3, first 2 shown]
	v_fma_f16 v12, v18, s6, v16
	v_fma_f16 v16, v18, s12, v16
	;; [unrolled: 1-line block ×6, first 2 shown]
	v_sub_f16_e32 v29, v5, v4
	v_add_f16_e32 v2, v2, v31
	v_add_f16_e32 v3, v3, v4
	v_fma_f16 v4, v6, s12, v21
	v_fma_f16 v21, v6, s6, v21
	v_add_f16_e32 v7, v7, v13
	v_fma_f16 v12, v19, s3, v12
	v_fma_f16 v13, v19, s13, v16
	;; [unrolled: 1-line block ×10, first 2 shown]
	v_lshrrev_b32_e32 v6, 3, v8
	v_mul_u32_u24_e32 v6, 40, v6
	v_add_f16_e32 v22, v28, v29
	v_fma_f16 v4, v27, s13, v4
	v_or_b32_e32 v6, v6, v11
	v_add_f16_e32 v3, v3, v5
	v_fma_f16 v4, v22, s7, v4
	v_lshlrev_b32_e32 v6, 2, v6
	v_fma_f16 v5, v27, s3, v21
	v_fma_f16 v16, v20, s7, v16
	;; [unrolled: 1-line block ×3, first 2 shown]
	v_add3_u32 v6, 0, v6, v10
	v_pack_b32_f16 v3, v7, v3
	v_pack_b32_f16 v4, v12, v4
	v_fma_f16 v5, v22, s7, v5
	ds_write2_b32 v6, v3, v4 offset1:8
	v_pack_b32_f16 v3, v16, v17
	v_pack_b32_f16 v2, v14, v2
	ds_write2_b32 v6, v3, v2 offset0:16 offset1:24
	v_pack_b32_f16 v2, v13, v5
	ds_write_b32 v6, v2 offset:128
	v_lshlrev_b32_e32 v2, 4, v8
	s_waitcnt lgkmcnt(0)
	s_barrier
	global_load_dwordx4 v[2:5], v2, s[16:17] offset:128
	ds_read2_b32 v[6:7], v9 offset0:40 offset1:80
	ds_read2_b32 v[10:11], v9 offset0:120 offset1:160
	ds_read_b32 v8, v1
	ds_read_u16 v1, v1 offset:2
	s_waitcnt lgkmcnt(0)
	s_barrier
	v_lshrrev_b32_e32 v14, 16, v10
	v_lshrrev_b32_e32 v12, 16, v6
	;; [unrolled: 1-line block ×4, first 2 shown]
	s_mul_i32 s16, s18, s34
	s_add_u32 s4, s16, s52
	s_addc_u32 s5, s5, s33
	s_and_b64 vcc, exec, s[0:1]
	s_waitcnt vmcnt(0)
	v_mul_f16_sdwa v16, v2, v12 dst_sel:DWORD dst_unused:UNUSED_PAD src0_sel:WORD_1 src1_sel:DWORD
	v_mul_f16_sdwa v18, v3, v13 dst_sel:DWORD dst_unused:UNUSED_PAD src0_sel:WORD_1 src1_sel:DWORD
	;; [unrolled: 1-line block ×8, first 2 shown]
	v_fma_f16 v6, v2, v6, -v16
	v_fma_f16 v7, v3, v7, -v18
	;; [unrolled: 1-line block ×3, first 2 shown]
	v_fma_f16 v2, v2, v12, v17
	v_fma_f16 v3, v3, v13, v19
	v_fma_f16 v11, v5, v11, -v22
	v_fma_f16 v5, v5, v15, v23
	v_add_f16_e32 v12, v6, v8
	v_add_f16_e32 v13, v7, v10
	v_fma_f16 v4, v4, v14, v21
	v_sub_f16_e32 v14, v2, v5
	v_sub_f16_e32 v16, v6, v7
	;; [unrolled: 1-line block ×3, first 2 shown]
	v_add_f16_e32 v18, v6, v11
	v_sub_f16_e32 v19, v7, v6
	v_sub_f16_e32 v20, v10, v11
	v_add_f16_e32 v12, v12, v7
	v_fma_f16 v13, v13, -0.5, v8
	v_sub_f16_e32 v15, v3, v4
	v_add_f16_e32 v21, v1, v2
	v_add_f16_e32 v22, v3, v4
	;; [unrolled: 1-line block ×3, first 2 shown]
	v_fma_f16 v8, v18, -0.5, v8
	v_add_f16_e32 v17, v19, v20
	v_add_f16_e32 v12, v12, v10
	v_fma_f16 v20, v14, s6, v13
	v_fma_f16 v13, v14, s12, v13
	v_sub_f16_e32 v6, v6, v11
	v_add_f16_e32 v18, v21, v3
	v_fma_f16 v19, v22, -0.5, v1
	v_fma_f16 v21, v15, s12, v8
	v_fma_f16 v8, v15, s6, v8
	v_add_f16_e32 v11, v12, v11
	v_fma_f16 v12, v15, s3, v20
	v_fma_f16 v13, v15, s13, v13
	;; [unrolled: 1-line block ×7, first 2 shown]
	v_sub_f16_e32 v7, v7, v10
	v_fma_f16 v15, v17, s7, v15
	v_fma_f16 v8, v17, s7, v8
	;; [unrolled: 1-line block ×3, first 2 shown]
	v_sub_f16_e32 v16, v2, v3
	v_sub_f16_e32 v17, v5, v4
	v_add_f16_e32 v16, v16, v17
	v_fma_f16 v17, v6, s6, v19
	v_fma_f16 v17, v7, s3, v17
	;; [unrolled: 1-line block ×4, first 2 shown]
	v_add_f16_e32 v17, v2, v5
	v_fma_f16 v1, v17, -0.5, v1
	v_add_f16_e32 v18, v18, v4
	v_fma_f16 v17, v7, s6, v1
	v_sub_f16_e32 v2, v3, v2
	v_sub_f16_e32 v3, v4, v5
	v_fma_f16 v1, v7, s12, v1
	v_add_f16_e32 v14, v18, v5
	v_fma_f16 v17, v6, s13, v17
	v_add_f16_e32 v2, v2, v3
	v_fma_f16 v1, v6, s3, v1
	v_fma_f16 v3, v2, s7, v17
	v_fma_f16 v1, v2, s7, v1
	v_pack_b32_f16 v2, v11, v14
	v_pack_b32_f16 v4, v12, v10
	ds_write2_b32 v9, v2, v4 offset1:40
	v_pack_b32_f16 v2, v15, v3
	v_pack_b32_f16 v1, v8, v1
	ds_write2_b32 v9, v2, v1 offset0:80 offset1:120
	v_pack_b32_f16 v1, v13, v16
	s_movk_i32 s3, 0x148
	ds_write_b32 v9, v1 offset:640
	v_mul_u32_u24_sdwa v1, v0, s3 dst_sel:DWORD dst_unused:UNUSED_PAD src0_sel:WORD_0 src1_sel:DWORD
	v_lshrrev_b32_e32 v2, 16, v1
	v_mul_lo_u16_e32 v1, 0xc8, v2
	v_sub_u16_e32 v8, v0, v1
	s_mov_b64 s[6:7], -1
	s_waitcnt lgkmcnt(0)
	s_barrier
	s_cbranch_vccz .LBB0_38
; %bb.37:
	v_mad_u64_u32 v[0:1], s[0:1], s8, v8, 0
	v_mov_b32_e32 v4, v1
	v_mad_u64_u32 v[4:5], s[0:1], s9, v8, v[4:5]
	v_mov_b32_e32 v1, v4
	;; [unrolled: 2-line block ×3, first 2 shown]
	v_mad_u64_u32 v[6:7], s[0:1], s11, v2, v[6:7]
	s_lshl_b64 s[0:1], s[4:5], 2
	s_add_u32 s0, s14, s0
	v_mov_b32_e32 v5, v6
	v_mul_u32_u24_e32 v3, 0x324, v2
	v_lshlrev_b32_e32 v6, 2, v8
	s_addc_u32 s1, s15, s1
	v_add3_u32 v3, 0, v3, v6
	v_lshl_add_u64 v[0:1], v[0:1], 2, s[0:1]
	v_lshl_add_u64 v[4:5], v[4:5], 2, v[0:1]
	ds_read_b32 v6, v3
	ds_read_b32 v9, v3 offset:1608
	ds_read_b32 v10, v3 offset:3216
	;; [unrolled: 1-line block ×4, first 2 shown]
	v_add_u32_e32 v7, 2, v2
	s_waitcnt lgkmcnt(4)
	global_store_dword v[4:5], v6, off
	v_mad_u64_u32 v[4:5], s[0:1], s10, v7, 0
	v_mov_b32_e32 v6, v5
	v_mad_u64_u32 v[6:7], s[0:1], s11, v7, v[6:7]
	v_mov_b32_e32 v5, v6
	v_lshl_add_u64 v[4:5], v[4:5], 2, v[0:1]
	v_or_b32_e32 v7, 4, v2
	s_waitcnt lgkmcnt(3)
	global_store_dword v[4:5], v9, off
	v_mad_u64_u32 v[4:5], s[0:1], s10, v7, 0
	v_mov_b32_e32 v6, v5
	v_mad_u64_u32 v[6:7], s[0:1], s11, v7, v[6:7]
	v_mov_b32_e32 v5, v6
	v_lshl_add_u64 v[4:5], v[4:5], 2, v[0:1]
	v_add_u32_e32 v7, 6, v2
	s_waitcnt lgkmcnt(2)
	global_store_dword v[4:5], v10, off
	v_mad_u64_u32 v[4:5], s[0:1], s10, v7, 0
	v_mov_b32_e32 v6, v5
	v_mad_u64_u32 v[6:7], s[0:1], s11, v7, v[6:7]
	v_mov_b32_e32 v5, v6
	v_lshl_add_u64 v[4:5], v[4:5], 2, v[0:1]
	v_or_b32_e32 v7, 8, v2
	s_waitcnt lgkmcnt(1)
	global_store_dword v[4:5], v11, off
	v_mad_u64_u32 v[4:5], s[0:1], s10, v7, 0
	v_mov_b32_e32 v6, v5
	v_mad_u64_u32 v[6:7], s[0:1], s11, v7, v[6:7]
	v_mov_b32_e32 v5, v6
	v_lshl_add_u64 v[0:1], v[4:5], 2, v[0:1]
	s_waitcnt lgkmcnt(0)
	global_store_dword v[0:1], v3, off
	s_mov_b64 s[6:7], 0
.LBB0_38:
	s_andn2_b64 vcc, exec, s[6:7]
	s_cbranch_vccnz .LBB0_49
; %bb.39:
	v_mov_b32_e32 v3, 0
	v_lshl_add_u64 v[0:1], s[30:31], 0, v[2:3]
	v_cmp_gt_u64_e32 vcc, s[24:25], v[0:1]
	s_and_saveexec_b64 s[0:1], vcc
	s_cbranch_execz .LBB0_49
; %bb.40:
	v_mad_u64_u32 v[4:5], s[0:1], s8, v8, 0
	v_mov_b32_e32 v6, v5
	v_mad_u64_u32 v[6:7], s[0:1], s9, v8, v[6:7]
	s_lshl_b64 s[0:1], s[4:5], 2
	s_add_u32 s0, s14, s0
	v_mov_b32_e32 v5, v6
	s_addc_u32 s1, s15, s1
	v_lshl_add_u64 v[4:5], v[4:5], 2, s[0:1]
	v_mad_u64_u32 v[6:7], s[0:1], s2, 10, v[2:3]
	s_mul_i32 s0, s28, s27
	s_mul_hi_u32 s1, s28, s26
	s_add_i32 s0, s1, s0
	s_mul_i32 s1, s28, s26
	s_mul_hi_u32 s3, s2, 10
	s_mul_i32 s4, s2, 10
	s_mul_i32 s2, s0, 10
	s_mul_hi_u32 s0, s1, 10
	s_add_i32 s0, s0, s2
	s_mul_i32 s5, s1, 10
	v_mov_b32_e32 v9, s0
	v_subrev_co_u32_e32 v6, vcc, s5, v6
	v_not_b32_e32 v11, 0
	s_nop 0
	v_subb_co_u32_e32 v7, vcc, v7, v9, vcc
	v_lshl_add_u64 v[6:7], v[6:7], 0, 2
	v_mov_b32_e32 v9, s25
	v_cmp_gt_u64_e32 vcc, s[24:25], v[6:7]
	v_not_b32_e32 v10, v2
	s_mov_b32 s5, 1
	v_cndmask_b32_e32 v7, v7, v9, vcc
	v_mov_b32_e32 v9, s24
	v_cndmask_b32_e32 v6, v6, v9, vcc
	v_mad_u64_u32 v[6:7], s[0:1], s1, 10, v[6:7]
	v_add_u32_e32 v7, s2, v7
	v_lshl_add_u64 v[6:7], v[6:7], 0, v[10:11]
	v_mov_b32_e32 v9, s3
	v_subrev_co_u32_e32 v6, vcc, s4, v6
	s_nop 1
	v_subb_co_u32_e32 v7, vcc, v7, v9, vcc
	v_alignbit_b32 v10, v7, v6, 1
	v_add_u32_e32 v9, 1, v10
	v_cmp_gt_u32_e32 vcc, 34, v9
	v_cmp_lt_u32_e64 s[0:1], 33, v9
	s_and_saveexec_b64 s[6:7], s[0:1]
	s_cbranch_execz .LBB0_46
; %bb.41:
	s_brev_b32 s2, -2
	v_and_b32_e32 v3, 0x7fffffff, v10
	v_cmp_gt_i32_e64 s[0:1], 0, v10
	v_cmp_eq_u32_e64 s[2:3], s2, v3
	v_lshlrev_b32_e32 v3, 1, v10
	v_not_b32_e32 v10, v2
	s_mov_b32 s4, -1
	s_or_b64 s[12:13], s[2:3], s[0:1]
	v_cmp_gt_u32_e64 s[2:3], v3, v10
	v_cmp_lt_u64_e64 s[4:5], s[4:5], v[6:7]
	s_or_b64 s[2:3], s[2:3], s[4:5]
	s_or_b64 s[0:1], s[2:3], s[0:1]
	s_or_b64 s[2:3], s[12:13], s[0:1]
	s_mov_b32 s8, 0
	s_mov_b64 s[0:1], -1
	s_xor_b64 s[4:5], s[2:3], -1
	v_mov_b32_e32 v3, 0
	s_and_saveexec_b64 s[2:3], s[4:5]
	s_cbranch_execz .LBB0_45
; %bb.42:
	v_and_b32_e32 v7, -2, v9
	s_mov_b32 s9, 2
	v_lshl_add_u32 v6, v8, 2, 0
	v_mov_b32_e32 v3, v2
	s_mov_b32 s12, s10
	s_mov_b32 s13, s11
	s_mov_b64 s[4:5], 0
	s_movk_i32 s14, 0x324
	v_mov_b32_e32 v10, v7
.LBB0_43:                               ; =>This Inner Loop Header: Depth=1
	v_add_u32_e32 v11, s8, v2
	v_add_u32_e32 v21, s9, v3
	v_mad_u64_u32 v[16:17], s[0:1], v11, s14, v[6:7]
	v_mad_u64_u32 v[18:19], s[0:1], v21, s14, v[6:7]
	ds_read_b32 v23, v16
	ds_read_b32 v24, v18
	v_add_u32_e32 v10, -2, v10
	v_mad_u64_u32 v[12:13], s[0:1], s10, v21, 0
	v_mad_u64_u32 v[14:15], s[0:1], s12, v11, 0
	s_add_i32 s8, s8, 4
	s_add_i32 s9, s9, 4
	v_cmp_eq_u32_e64 s[0:1], 0, v10
	v_mov_b32_e32 v22, v15
	v_mov_b32_e32 v20, v13
	s_or_b64 s[4:5], s[0:1], s[4:5]
	s_waitcnt lgkmcnt(1)
	v_mad_u64_u32 v[18:19], s[0:1], s13, v11, v[22:23]
	v_mad_u64_u32 v[16:17], s[0:1], s11, v21, v[20:21]
	v_mov_b32_e32 v15, v18
	v_mov_b32_e32 v13, v16
	v_lshl_add_u64 v[14:15], v[14:15], 2, v[4:5]
	v_lshl_add_u64 v[12:13], v[12:13], 2, v[4:5]
	global_store_dword v[14:15], v23, off
	s_waitcnt lgkmcnt(0)
	global_store_dword v[12:13], v24, off
	s_andn2_b64 exec, exec, s[4:5]
	s_cbranch_execnz .LBB0_43
; %bb.44:
	s_or_b64 exec, exec, s[4:5]
	v_cmp_ne_u32_e64 s[0:1], v9, v7
	v_lshlrev_b32_e32 v3, 1, v7
	s_orn2_b64 s[0:1], s[0:1], exec
.LBB0_45:
	s_or_b64 exec, exec, s[2:3]
	s_andn2_b64 s[2:3], vcc, exec
	s_and_b64 s[0:1], s[0:1], exec
	s_or_b64 vcc, s[2:3], s[0:1]
.LBB0_46:
	s_or_b64 exec, exec, s[6:7]
	s_and_b64 exec, exec, vcc
	s_cbranch_execz .LBB0_49
; %bb.47:
	v_add_u32_e32 v6, v3, v2
	s_movk_i32 s0, 0x324
	v_mul_lo_u32 v6, v6, s0
	v_lshlrev_b32_e32 v7, 2, v8
	v_add3_u32 v8, v6, v7, 0
	s_mov_b64 s[0:1], 0
	v_mov_b32_e32 v7, 0
	v_mov_b32_e32 v6, v3
.LBB0_48:                               ; =>This Inner Loop Header: Depth=1
	v_add_u32_e32 v3, v2, v6
	ds_read_b32 v9, v8
	v_add_u32_e32 v6, 2, v6
	v_mad_u64_u32 v[10:11], s[2:3], s10, v3, 0
	v_lshl_add_u64 v[12:13], v[0:1], 0, v[6:7]
	v_mov_b32_e32 v14, v11
	v_cmp_le_u64_e32 vcc, s[24:25], v[12:13]
	v_mad_u64_u32 v[12:13], s[2:3], s11, v3, v[14:15]
	v_mov_b32_e32 v11, v12
	v_add_u32_e32 v8, 0x648, v8
	s_or_b64 s[0:1], vcc, s[0:1]
	v_lshl_add_u64 v[10:11], v[10:11], 2, v[4:5]
	s_waitcnt lgkmcnt(0)
	global_store_dword v[10:11], v9, off
	s_andn2_b64 exec, exec, s[0:1]
	s_cbranch_execnz .LBB0_48
.LBB0_49:
	s_endpgm
.LBB0_50:
                                        ; implicit-def: $vgpr4_vgpr5
	s_branch .LBB0_21
	.section	.rodata,"a",@progbits
	.p2align	6, 0x0
	.amdhsa_kernel fft_rtc_fwd_len200_factors_8_5_5_wgs_400_tpt_40_half_op_CI_CI_sbcr_C2R_dirReg
		.amdhsa_group_segment_fixed_size 0
		.amdhsa_private_segment_fixed_size 0
		.amdhsa_kernarg_size 104
		.amdhsa_user_sgpr_count 2
		.amdhsa_user_sgpr_dispatch_ptr 0
		.amdhsa_user_sgpr_queue_ptr 0
		.amdhsa_user_sgpr_kernarg_segment_ptr 1
		.amdhsa_user_sgpr_dispatch_id 0
		.amdhsa_user_sgpr_kernarg_preload_length 0
		.amdhsa_user_sgpr_kernarg_preload_offset 0
		.amdhsa_user_sgpr_private_segment_size 0
		.amdhsa_uses_dynamic_stack 0
		.amdhsa_enable_private_segment 0
		.amdhsa_system_sgpr_workgroup_id_x 1
		.amdhsa_system_sgpr_workgroup_id_y 0
		.amdhsa_system_sgpr_workgroup_id_z 0
		.amdhsa_system_sgpr_workgroup_info 0
		.amdhsa_system_vgpr_workitem_id 0
		.amdhsa_next_free_vgpr 32
		.amdhsa_next_free_sgpr 58
		.amdhsa_accum_offset 32
		.amdhsa_reserve_vcc 1
		.amdhsa_float_round_mode_32 0
		.amdhsa_float_round_mode_16_64 0
		.amdhsa_float_denorm_mode_32 3
		.amdhsa_float_denorm_mode_16_64 3
		.amdhsa_dx10_clamp 1
		.amdhsa_ieee_mode 1
		.amdhsa_fp16_overflow 0
		.amdhsa_tg_split 0
		.amdhsa_exception_fp_ieee_invalid_op 0
		.amdhsa_exception_fp_denorm_src 0
		.amdhsa_exception_fp_ieee_div_zero 0
		.amdhsa_exception_fp_ieee_overflow 0
		.amdhsa_exception_fp_ieee_underflow 0
		.amdhsa_exception_fp_ieee_inexact 0
		.amdhsa_exception_int_div_zero 0
	.end_amdhsa_kernel
	.text
.Lfunc_end0:
	.size	fft_rtc_fwd_len200_factors_8_5_5_wgs_400_tpt_40_half_op_CI_CI_sbcr_C2R_dirReg, .Lfunc_end0-fft_rtc_fwd_len200_factors_8_5_5_wgs_400_tpt_40_half_op_CI_CI_sbcr_C2R_dirReg
                                        ; -- End function
	.section	.AMDGPU.csdata,"",@progbits
; Kernel info:
; codeLenInByte = 7144
; NumSgprs: 64
; NumVgprs: 32
; NumAgprs: 0
; TotalNumVgprs: 32
; ScratchSize: 0
; MemoryBound: 0
; FloatMode: 240
; IeeeMode: 1
; LDSByteSize: 0 bytes/workgroup (compile time only)
; SGPRBlocks: 7
; VGPRBlocks: 3
; NumSGPRsForWavesPerEU: 64
; NumVGPRsForWavesPerEU: 32
; AccumOffset: 32
; Occupancy: 7
; WaveLimiterHint : 1
; COMPUTE_PGM_RSRC2:SCRATCH_EN: 0
; COMPUTE_PGM_RSRC2:USER_SGPR: 2
; COMPUTE_PGM_RSRC2:TRAP_HANDLER: 0
; COMPUTE_PGM_RSRC2:TGID_X_EN: 1
; COMPUTE_PGM_RSRC2:TGID_Y_EN: 0
; COMPUTE_PGM_RSRC2:TGID_Z_EN: 0
; COMPUTE_PGM_RSRC2:TIDIG_COMP_CNT: 0
; COMPUTE_PGM_RSRC3_GFX90A:ACCUM_OFFSET: 7
; COMPUTE_PGM_RSRC3_GFX90A:TG_SPLIT: 0
	.text
	.p2alignl 6, 3212836864
	.fill 256, 4, 3212836864
	.type	__hip_cuid_a1ce1d237e52837b,@object ; @__hip_cuid_a1ce1d237e52837b
	.section	.bss,"aw",@nobits
	.globl	__hip_cuid_a1ce1d237e52837b
__hip_cuid_a1ce1d237e52837b:
	.byte	0                               ; 0x0
	.size	__hip_cuid_a1ce1d237e52837b, 1

	.ident	"AMD clang version 19.0.0git (https://github.com/RadeonOpenCompute/llvm-project roc-6.4.0 25133 c7fe45cf4b819c5991fe208aaa96edf142730f1d)"
	.section	".note.GNU-stack","",@progbits
	.addrsig
	.addrsig_sym __hip_cuid_a1ce1d237e52837b
	.amdgpu_metadata
---
amdhsa.kernels:
  - .agpr_count:     0
    .args:
      - .actual_access:  read_only
        .address_space:  global
        .offset:         0
        .size:           8
        .value_kind:     global_buffer
      - .offset:         8
        .size:           8
        .value_kind:     by_value
      - .actual_access:  read_only
        .address_space:  global
        .offset:         16
        .size:           8
        .value_kind:     global_buffer
      - .actual_access:  read_only
        .address_space:  global
        .offset:         24
        .size:           8
        .value_kind:     global_buffer
      - .actual_access:  read_only
        .address_space:  global
        .offset:         32
        .size:           8
        .value_kind:     global_buffer
      - .offset:         40
        .size:           8
        .value_kind:     by_value
      - .actual_access:  read_only
        .address_space:  global
        .offset:         48
        .size:           8
        .value_kind:     global_buffer
      - .actual_access:  read_only
        .address_space:  global
        .offset:         56
        .size:           8
        .value_kind:     global_buffer
      - .offset:         64
        .size:           4
        .value_kind:     by_value
      - .actual_access:  read_only
        .address_space:  global
        .offset:         72
        .size:           8
        .value_kind:     global_buffer
      - .actual_access:  read_only
        .address_space:  global
        .offset:         80
        .size:           8
        .value_kind:     global_buffer
      - .actual_access:  read_only
        .address_space:  global
        .offset:         88
        .size:           8
        .value_kind:     global_buffer
      - .actual_access:  write_only
        .address_space:  global
        .offset:         96
        .size:           8
        .value_kind:     global_buffer
    .group_segment_fixed_size: 0
    .kernarg_segment_align: 8
    .kernarg_segment_size: 104
    .language:       OpenCL C
    .language_version:
      - 2
      - 0
    .max_flat_workgroup_size: 400
    .name:           fft_rtc_fwd_len200_factors_8_5_5_wgs_400_tpt_40_half_op_CI_CI_sbcr_C2R_dirReg
    .private_segment_fixed_size: 0
    .sgpr_count:     64
    .sgpr_spill_count: 0
    .symbol:         fft_rtc_fwd_len200_factors_8_5_5_wgs_400_tpt_40_half_op_CI_CI_sbcr_C2R_dirReg.kd
    .uniform_work_group_size: 1
    .uses_dynamic_stack: false
    .vgpr_count:     32
    .vgpr_spill_count: 0
    .wavefront_size: 64
amdhsa.target:   amdgcn-amd-amdhsa--gfx950
amdhsa.version:
  - 1
  - 2
...

	.end_amdgpu_metadata
